;; amdgpu-corpus repo=ROCm/rocFFT kind=compiled arch=gfx1030 opt=O3
	.text
	.amdgcn_target "amdgcn-amd-amdhsa--gfx1030"
	.amdhsa_code_object_version 6
	.protected	fft_rtc_fwd_len680_factors_17_4_10_wgs_204_tpt_68_halfLds_dp_op_CI_CI_unitstride_sbrr_dirReg ; -- Begin function fft_rtc_fwd_len680_factors_17_4_10_wgs_204_tpt_68_halfLds_dp_op_CI_CI_unitstride_sbrr_dirReg
	.globl	fft_rtc_fwd_len680_factors_17_4_10_wgs_204_tpt_68_halfLds_dp_op_CI_CI_unitstride_sbrr_dirReg
	.p2align	8
	.type	fft_rtc_fwd_len680_factors_17_4_10_wgs_204_tpt_68_halfLds_dp_op_CI_CI_unitstride_sbrr_dirReg,@function
fft_rtc_fwd_len680_factors_17_4_10_wgs_204_tpt_68_halfLds_dp_op_CI_CI_unitstride_sbrr_dirReg: ; @fft_rtc_fwd_len680_factors_17_4_10_wgs_204_tpt_68_halfLds_dp_op_CI_CI_unitstride_sbrr_dirReg
; %bb.0:
	s_load_dwordx4 s[12:15], s[4:5], 0x0
	v_mul_u32_u24_e32 v1, 0x3c4, v0
	s_clause 0x1
	s_load_dwordx4 s[8:11], s[4:5], 0x58
	s_load_dwordx4 s[16:19], s[4:5], 0x18
	v_mov_b32_e32 v40, 0
	v_mov_b32_e32 v41, 0
	v_lshrrev_b32_e32 v2, 16, v1
	v_mov_b32_e32 v1, 0
	v_mov_b32_e32 v97, v41
	;; [unrolled: 1-line block ×3, first 2 shown]
	v_mad_u64_u32 v[76:77], null, s6, 3, v[2:3]
	v_mov_b32_e32 v77, v1
	v_mov_b32_e32 v99, v77
	;; [unrolled: 1-line block ×3, first 2 shown]
	s_waitcnt lgkmcnt(0)
	v_cmp_lt_u64_e64 s0, s[14:15], 2
	s_and_b32 vcc_lo, exec_lo, s0
	s_cbranch_vccnz .LBB0_8
; %bb.1:
	s_load_dwordx2 s[0:1], s[4:5], 0x10
	v_mov_b32_e32 v40, 0
	v_mov_b32_e32 v41, 0
	s_add_u32 s2, s18, 8
	v_mov_b32_e32 v3, v76
	s_addc_u32 s3, s19, 0
	v_mov_b32_e32 v4, v77
	v_mov_b32_e32 v97, v41
	s_add_u32 s6, s16, 8
	v_mov_b32_e32 v96, v40
	s_addc_u32 s7, s17, 0
	s_mov_b64 s[22:23], 1
	s_waitcnt lgkmcnt(0)
	s_add_u32 s20, s0, 8
	s_addc_u32 s21, s1, 0
.LBB0_2:                                ; =>This Inner Loop Header: Depth=1
	s_load_dwordx2 s[24:25], s[20:21], 0x0
                                        ; implicit-def: $vgpr98_vgpr99
	s_mov_b32 s0, exec_lo
	s_waitcnt lgkmcnt(0)
	v_or_b32_e32 v2, s25, v4
	v_cmpx_ne_u64_e32 0, v[1:2]
	s_xor_b32 s1, exec_lo, s0
	s_cbranch_execz .LBB0_4
; %bb.3:                                ;   in Loop: Header=BB0_2 Depth=1
	v_cvt_f32_u32_e32 v2, s24
	v_cvt_f32_u32_e32 v5, s25
	s_sub_u32 s0, 0, s24
	s_subb_u32 s26, 0, s25
	v_fmac_f32_e32 v2, 0x4f800000, v5
	v_rcp_f32_e32 v2, v2
	v_mul_f32_e32 v2, 0x5f7ffffc, v2
	v_mul_f32_e32 v5, 0x2f800000, v2
	v_trunc_f32_e32 v5, v5
	v_fmac_f32_e32 v2, 0xcf800000, v5
	v_cvt_u32_f32_e32 v5, v5
	v_cvt_u32_f32_e32 v2, v2
	v_mul_lo_u32 v6, s0, v5
	v_mul_hi_u32 v7, s0, v2
	v_mul_lo_u32 v8, s26, v2
	v_add_nc_u32_e32 v6, v7, v6
	v_mul_lo_u32 v7, s0, v2
	v_add_nc_u32_e32 v6, v6, v8
	v_mul_hi_u32 v8, v2, v7
	v_mul_lo_u32 v9, v2, v6
	v_mul_hi_u32 v10, v2, v6
	v_mul_hi_u32 v11, v5, v7
	v_mul_lo_u32 v7, v5, v7
	v_mul_hi_u32 v12, v5, v6
	v_mul_lo_u32 v6, v5, v6
	v_add_co_u32 v8, vcc_lo, v8, v9
	v_add_co_ci_u32_e32 v9, vcc_lo, 0, v10, vcc_lo
	v_add_co_u32 v7, vcc_lo, v8, v7
	v_add_co_ci_u32_e32 v7, vcc_lo, v9, v11, vcc_lo
	v_add_co_ci_u32_e32 v8, vcc_lo, 0, v12, vcc_lo
	v_add_co_u32 v6, vcc_lo, v7, v6
	v_add_co_ci_u32_e32 v7, vcc_lo, 0, v8, vcc_lo
	v_add_co_u32 v2, vcc_lo, v2, v6
	v_add_co_ci_u32_e32 v5, vcc_lo, v5, v7, vcc_lo
	v_mul_hi_u32 v6, s0, v2
	v_mul_lo_u32 v8, s26, v2
	v_mul_lo_u32 v7, s0, v5
	v_add_nc_u32_e32 v6, v6, v7
	v_mul_lo_u32 v7, s0, v2
	v_add_nc_u32_e32 v6, v6, v8
	v_mul_hi_u32 v8, v2, v7
	v_mul_lo_u32 v9, v2, v6
	v_mul_hi_u32 v10, v2, v6
	v_mul_hi_u32 v11, v5, v7
	v_mul_lo_u32 v7, v5, v7
	v_mul_hi_u32 v12, v5, v6
	v_mul_lo_u32 v6, v5, v6
	v_add_co_u32 v8, vcc_lo, v8, v9
	v_add_co_ci_u32_e32 v9, vcc_lo, 0, v10, vcc_lo
	v_add_co_u32 v7, vcc_lo, v8, v7
	v_add_co_ci_u32_e32 v7, vcc_lo, v9, v11, vcc_lo
	v_add_co_ci_u32_e32 v8, vcc_lo, 0, v12, vcc_lo
	v_add_co_u32 v6, vcc_lo, v7, v6
	v_add_co_ci_u32_e32 v7, vcc_lo, 0, v8, vcc_lo
	v_add_co_u32 v2, vcc_lo, v2, v6
	v_add_co_ci_u32_e32 v9, vcc_lo, v5, v7, vcc_lo
	v_mul_hi_u32 v11, v3, v2
	v_mad_u64_u32 v[7:8], null, v4, v2, 0
	v_mad_u64_u32 v[5:6], null, v3, v9, 0
	;; [unrolled: 1-line block ×3, first 2 shown]
	v_add_co_u32 v2, vcc_lo, v11, v5
	v_add_co_ci_u32_e32 v5, vcc_lo, 0, v6, vcc_lo
	v_add_co_u32 v2, vcc_lo, v2, v7
	v_add_co_ci_u32_e32 v2, vcc_lo, v5, v8, vcc_lo
	v_add_co_ci_u32_e32 v5, vcc_lo, 0, v10, vcc_lo
	v_add_co_u32 v2, vcc_lo, v2, v9
	v_add_co_ci_u32_e32 v7, vcc_lo, 0, v5, vcc_lo
	v_mul_lo_u32 v8, s25, v2
	v_mad_u64_u32 v[5:6], null, s24, v2, 0
	v_mul_lo_u32 v9, s24, v7
	v_sub_co_u32 v5, vcc_lo, v3, v5
	v_add3_u32 v6, v6, v9, v8
	v_sub_nc_u32_e32 v8, v4, v6
	v_subrev_co_ci_u32_e64 v8, s0, s25, v8, vcc_lo
	v_add_co_u32 v9, s0, v2, 2
	v_add_co_ci_u32_e64 v10, s0, 0, v7, s0
	v_sub_co_u32 v11, s0, v5, s24
	v_sub_co_ci_u32_e32 v6, vcc_lo, v4, v6, vcc_lo
	v_subrev_co_ci_u32_e64 v8, s0, 0, v8, s0
	v_cmp_le_u32_e32 vcc_lo, s24, v11
	v_cmp_eq_u32_e64 s0, s25, v6
	v_cndmask_b32_e64 v11, 0, -1, vcc_lo
	v_cmp_le_u32_e32 vcc_lo, s25, v8
	v_cndmask_b32_e64 v12, 0, -1, vcc_lo
	v_cmp_le_u32_e32 vcc_lo, s24, v5
	;; [unrolled: 2-line block ×3, first 2 shown]
	v_cndmask_b32_e64 v13, 0, -1, vcc_lo
	v_cmp_eq_u32_e32 vcc_lo, s25, v8
	v_cndmask_b32_e64 v5, v13, v5, s0
	v_cndmask_b32_e32 v8, v12, v11, vcc_lo
	v_add_co_u32 v11, vcc_lo, v2, 1
	v_add_co_ci_u32_e32 v12, vcc_lo, 0, v7, vcc_lo
	v_cmp_ne_u32_e32 vcc_lo, 0, v8
	v_cndmask_b32_e32 v6, v12, v10, vcc_lo
	v_cndmask_b32_e32 v8, v11, v9, vcc_lo
	v_cmp_ne_u32_e32 vcc_lo, 0, v5
	v_cndmask_b32_e32 v99, v7, v6, vcc_lo
	v_cndmask_b32_e32 v98, v2, v8, vcc_lo
.LBB0_4:                                ;   in Loop: Header=BB0_2 Depth=1
	s_andn2_saveexec_b32 s0, s1
	s_cbranch_execz .LBB0_6
; %bb.5:                                ;   in Loop: Header=BB0_2 Depth=1
	v_cvt_f32_u32_e32 v2, s24
	s_sub_i32 s1, 0, s24
	v_mov_b32_e32 v99, v1
	v_rcp_iflag_f32_e32 v2, v2
	v_mul_f32_e32 v2, 0x4f7ffffe, v2
	v_cvt_u32_f32_e32 v2, v2
	v_mul_lo_u32 v5, s1, v2
	v_mul_hi_u32 v5, v2, v5
	v_add_nc_u32_e32 v2, v2, v5
	v_mul_hi_u32 v2, v3, v2
	v_mul_lo_u32 v5, v2, s24
	v_add_nc_u32_e32 v6, 1, v2
	v_sub_nc_u32_e32 v5, v3, v5
	v_subrev_nc_u32_e32 v7, s24, v5
	v_cmp_le_u32_e32 vcc_lo, s24, v5
	v_cndmask_b32_e32 v5, v5, v7, vcc_lo
	v_cndmask_b32_e32 v2, v2, v6, vcc_lo
	v_cmp_le_u32_e32 vcc_lo, s24, v5
	v_add_nc_u32_e32 v6, 1, v2
	v_cndmask_b32_e32 v98, v2, v6, vcc_lo
.LBB0_6:                                ;   in Loop: Header=BB0_2 Depth=1
	s_or_b32 exec_lo, exec_lo, s0
	v_mul_lo_u32 v2, v99, s24
	v_mul_lo_u32 v7, v98, s25
	s_load_dwordx2 s[0:1], s[6:7], 0x0
	v_mad_u64_u32 v[5:6], null, v98, s24, 0
	s_load_dwordx2 s[24:25], s[2:3], 0x0
	s_add_u32 s22, s22, 1
	s_addc_u32 s23, s23, 0
	s_add_u32 s2, s2, 8
	s_addc_u32 s3, s3, 0
	s_add_u32 s6, s6, 8
	v_add3_u32 v2, v6, v7, v2
	v_sub_co_u32 v3, vcc_lo, v3, v5
	s_addc_u32 s7, s7, 0
	s_add_u32 s20, s20, 8
	v_sub_co_ci_u32_e32 v2, vcc_lo, v4, v2, vcc_lo
	s_addc_u32 s21, s21, 0
	s_waitcnt lgkmcnt(0)
	v_mul_lo_u32 v4, s0, v2
	v_mul_lo_u32 v5, s1, v3
	v_mad_u64_u32 v[40:41], null, s0, v3, v[40:41]
	v_mul_lo_u32 v2, s24, v2
	v_mul_lo_u32 v6, s25, v3
	v_mad_u64_u32 v[96:97], null, s24, v3, v[96:97]
	v_cmp_ge_u64_e64 s0, s[22:23], s[14:15]
	v_add3_u32 v41, v5, v41, v4
	v_add3_u32 v97, v6, v97, v2
	s_and_b32 vcc_lo, exec_lo, s0
	s_cbranch_vccnz .LBB0_8
; %bb.7:                                ;   in Loop: Header=BB0_2 Depth=1
	v_mov_b32_e32 v3, v98
	v_mov_b32_e32 v4, v99
	s_branch .LBB0_2
.LBB0_8:
	s_load_dwordx2 s[0:1], s[4:5], 0x28
	s_lshl_b64 s[4:5], s[14:15], 3
	v_mul_hi_u32 v1, 0x3c3c3c4, v0
	s_add_u32 s2, s18, s4
	s_addc_u32 s3, s19, s5
	v_mov_b32_e32 v101, 0
	s_load_dwordx2 s[2:3], s[2:3], 0x0
                                        ; implicit-def: $vgpr66_vgpr67
                                        ; implicit-def: $vgpr70_vgpr71
                                        ; implicit-def: $vgpr58_vgpr59
                                        ; implicit-def: $vgpr50_vgpr51
                                        ; implicit-def: $vgpr34_vgpr35
                                        ; implicit-def: $vgpr26_vgpr27
                                        ; implicit-def: $vgpr2_vgpr3
                                        ; implicit-def: $vgpr6_vgpr7
                                        ; implicit-def: $vgpr10_vgpr11
                                        ; implicit-def: $vgpr14_vgpr15
                                        ; implicit-def: $vgpr18_vgpr19
                                        ; implicit-def: $vgpr22_vgpr23
                                        ; implicit-def: $vgpr38_vgpr39
                                        ; implicit-def: $vgpr46_vgpr47
                                        ; implicit-def: $vgpr62_vgpr63
                                        ; implicit-def: $vgpr74_vgpr75
                                        ; implicit-def: $vgpr30_vgpr31
	v_mul_u32_u24_e32 v1, 0x44, v1
	v_sub_nc_u32_e32 v100, v0, v1
	s_waitcnt lgkmcnt(0)
	v_cmp_gt_u64_e32 vcc_lo, s[0:1], v[98:99]
	s_and_saveexec_b32 s1, vcc_lo
	s_cbranch_execz .LBB0_12
; %bb.9:
	s_mov_b32 s6, exec_lo
                                        ; implicit-def: $vgpr28_vgpr29
                                        ; implicit-def: $vgpr72_vgpr73
                                        ; implicit-def: $vgpr60_vgpr61
                                        ; implicit-def: $vgpr44_vgpr45
                                        ; implicit-def: $vgpr36_vgpr37
                                        ; implicit-def: $vgpr20_vgpr21
                                        ; implicit-def: $vgpr16_vgpr17
                                        ; implicit-def: $vgpr12_vgpr13
                                        ; implicit-def: $vgpr8_vgpr9
                                        ; implicit-def: $vgpr4_vgpr5
                                        ; implicit-def: $vgpr0_vgpr1
                                        ; implicit-def: $vgpr24_vgpr25
                                        ; implicit-def: $vgpr32_vgpr33
                                        ; implicit-def: $vgpr48_vgpr49
                                        ; implicit-def: $vgpr56_vgpr57
                                        ; implicit-def: $vgpr68_vgpr69
                                        ; implicit-def: $vgpr64_vgpr65
	v_cmpx_gt_u32_e32 40, v100
	s_cbranch_execz .LBB0_11
; %bb.10:
	s_add_u32 s4, s16, s4
	s_addc_u32 s5, s17, s5
	v_mov_b32_e32 v101, 0
	s_load_dwordx2 s[4:5], s[4:5], 0x0
	v_or_b32_e32 v4, 0x140, v100
	v_or_b32_e32 v6, 0x280, v100
	v_mov_b32_e32 v5, v101
	v_lshlrev_b64 v[8:9], 4, v[100:101]
	v_mov_b32_e32 v7, v101
	s_waitcnt lgkmcnt(0)
	v_mul_lo_u32 v2, s5, v98
	v_mul_lo_u32 v3, s4, v99
	v_mad_u64_u32 v[0:1], null, s4, v98, 0
	v_add3_u32 v1, v1, v3, v2
	v_lshlrev_b64 v[2:3], 4, v[40:41]
	v_lshlrev_b64 v[0:1], 4, v[0:1]
	v_add_co_u32 v10, s0, s8, v0
	v_add_co_ci_u32_e64 v11, s0, s9, v1, s0
	v_lshlrev_b64 v[0:1], 4, v[4:5]
	v_add_co_u32 v12, s0, v10, v2
	v_add_co_ci_u32_e64 v13, s0, v11, v3, s0
	;; [unrolled: 3-line block ×3, first 2 shown]
	v_add_co_u32 v0, s0, v12, v0
	v_add_co_ci_u32_e64 v1, s0, v13, v1, s0
	v_add_co_u32 v6, s0, 0x800, v4
	v_add_co_ci_u32_e64 v7, s0, 0, v5, s0
	;; [unrolled: 2-line block ×4, first 2 shown]
	s_clause 0x3
	global_load_dwordx4 v[28:31], v[4:5], off
	global_load_dwordx4 v[64:67], v[4:5], off offset:640
	global_load_dwordx4 v[68:71], v[4:5], off offset:1280
	;; [unrolled: 1-line block ×3, first 2 shown]
	v_add_co_u32 v4, s0, 0x2000, v4
	v_add_co_ci_u32_e64 v5, s0, 0, v5, s0
	s_clause 0x5
	global_load_dwordx4 v[60:63], v[6:7], off offset:512
	global_load_dwordx4 v[56:59], v[6:7], off offset:1152
	;; [unrolled: 1-line block ×4, first 2 shown]
	global_load_dwordx4 v[36:39], v[0:1], off
	global_load_dwordx4 v[32:35], v[8:9], off offset:1664
	v_add_co_u32 v0, s0, v12, v2
	v_add_co_ci_u32_e64 v1, s0, v13, v3, s0
	s_clause 0x6
	global_load_dwordx4 v[24:27], v[10:11], off offset:256
	global_load_dwordx4 v[20:23], v[10:11], off offset:896
	global_load_dwordx4 v[16:19], v[10:11], off offset:1536
	global_load_dwordx4 v[12:15], v[4:5], off offset:128
	global_load_dwordx4 v[8:11], v[4:5], off offset:768
	global_load_dwordx4 v[4:7], v[4:5], off offset:1408
	global_load_dwordx4 v[0:3], v[0:1], off
.LBB0_11:
	s_or_b32 exec_lo, exec_lo, s6
	v_mov_b32_e32 v101, v100
.LBB0_12:
	s_or_b32 exec_lo, exec_lo, s1
	s_waitcnt vmcnt(0)
	v_add_f64 v[77:78], v[64:65], v[0:1]
	s_mov_b32 s4, 0x6ed5f1bb
	s_mov_b32 s6, 0x910ea3b9
	;; [unrolled: 1-line block ×6, first 2 shown]
	v_add_f64 v[81:82], v[66:67], -v[2:3]
	v_add_f64 v[79:80], v[68:69], v[4:5]
	s_mov_b32 s26, 0x6c9a05f6
	s_mov_b32 s18, 0xc61f0d01
	;; [unrolled: 1-line block ×13, first 2 shown]
	v_mul_f64 v[102:103], v[77:78], s[4:5]
	v_mul_f64 v[104:105], v[77:78], s[6:7]
	;; [unrolled: 1-line block ×3, first 2 shown]
	s_mov_b32 s28, s40
	v_add_f64 v[116:117], v[70:71], -v[6:7]
	v_add_f64 v[91:92], v[8:9], v[72:73]
	s_mov_b32 s34, 0x923c349f
	s_mov_b32 s36, 0x7c9e640b
	v_mul_f64 v[106:107], v[79:80], s[18:19]
	v_mul_f64 v[108:109], v[79:80], s[16:17]
	;; [unrolled: 1-line block ×3, first 2 shown]
	s_mov_b32 s38, 0x5d8e7cdc
	s_mov_b32 s20, 0x3259b75e
	;; [unrolled: 1-line block ×8, first 2 shown]
	v_add_f64 v[122:123], v[74:75], -v[10:11]
	v_add_f64 v[93:94], v[12:13], v[60:61]
	s_mov_b32 s42, 0xeb564b22
	v_fma_f64 v[52:53], v[81:82], s[26:27], v[102:103]
	v_fma_f64 v[54:55], v[81:82], s[24:25], v[104:105]
	;; [unrolled: 1-line block ×4, first 2 shown]
	s_mov_b32 s22, 0x75d4884
	v_mul_f64 v[110:111], v[91:92], s[14:15]
	v_mul_f64 v[112:113], v[91:92], s[20:21]
	v_mul_f64 v[85:86], v[91:92], s[6:7]
	v_fma_f64 v[87:88], v[116:117], s[34:35], v[106:107]
	v_fma_f64 v[120:121], v[116:117], s[36:37], v[108:109]
	;; [unrolled: 1-line block ×4, first 2 shown]
	s_mov_b32 s43, 0xbfefdd0d
	s_mov_b32 s23, 0x3fe7a5f6
	;; [unrolled: 1-line block ×4, first 2 shown]
	v_add_f64 v[126:127], v[62:63], -v[14:15]
	v_add_f64 v[89:90], v[56:57], v[16:17]
	s_mov_b32 s50, 0x2a9d6da3
	s_mov_b32 s49, 0x3fe9895b
	v_mul_f64 v[114:115], v[93:94], s[6:7]
	v_mul_f64 v[118:119], v[93:94], s[4:5]
	v_add_f64 v[52:53], v[52:53], v[28:29]
	v_add_f64 v[54:55], v[54:55], v[28:29]
	;; [unrolled: 1-line block ×4, first 2 shown]
	v_mul_f64 v[128:129], v[93:94], s[22:23]
	v_fma_f64 v[130:131], v[122:123], s[38:39], v[110:111]
	v_fma_f64 v[134:135], v[122:123], s[42:43], v[112:113]
	v_fma_f64 v[136:137], v[122:123], s[46:47], v[85:86]
	v_fma_f64 v[138:139], v[122:123], s[24:25], v[85:86]
	s_mov_b32 s51, 0xbfe58eea
	s_mov_b32 s45, 0x3fe58eea
	;; [unrolled: 1-line block ×4, first 2 shown]
	v_add_f64 v[132:133], v[58:59], -v[18:19]
	v_add_f64 v[85:86], v[48:49], v[20:21]
	s_mov_b32 s53, 0x3fefdd0d
	s_mov_b32 s52, s42
	;; [unrolled: 1-line block ×5, first 2 shown]
	v_fma_f64 v[140:141], v[126:127], s[24:25], v[114:115]
	v_fma_f64 v[142:143], v[126:127], s[48:49], v[118:119]
	v_add_f64 v[52:53], v[87:88], v[52:53]
	v_add_f64 v[54:55], v[120:121], v[54:55]
	;; [unrolled: 1-line block ×4, first 2 shown]
	v_mul_f64 v[120:121], v[89:90], s[20:21]
	v_mul_f64 v[124:125], v[89:90], s[14:15]
	;; [unrolled: 1-line block ×3, first 2 shown]
	v_fma_f64 v[144:145], v[126:127], s[50:51], v[128:129]
	v_fma_f64 v[146:147], v[126:127], s[44:45], v[128:129]
	v_add_f64 v[87:88], v[24:25], v[44:45]
	s_mov_b32 s56, s34
	v_cmp_gt_u32_e64 s1, 40, v100
	v_mul_f64 v[128:129], v[85:86], s[22:23]
	v_mul_f64 v[148:149], v[85:86], s[16:17]
	v_add_f64 v[52:53], v[130:131], v[52:53]
	v_add_f64 v[54:55], v[134:135], v[54:55]
	;; [unrolled: 1-line block ×4, first 2 shown]
	v_add_f64 v[136:137], v[50:51], -v[22:23]
	v_mul_f64 v[130:131], v[85:86], s[8:9]
	v_fma_f64 v[150:151], v[132:133], s[52:53], v[120:121]
	v_fma_f64 v[152:153], v[132:133], s[38:39], v[124:125]
	;; [unrolled: 1-line block ×4, first 2 shown]
	v_mul_f64 v[134:135], v[87:88], s[8:9]
	v_mul_f64 v[138:139], v[87:88], s[22:23]
	;; [unrolled: 1-line block ×3, first 2 shown]
	v_add_f64 v[52:53], v[140:141], v[52:53]
	v_add_f64 v[54:55], v[142:143], v[54:55]
	;; [unrolled: 1-line block ×4, first 2 shown]
	v_add_f64 v[142:143], v[46:47], -v[26:27]
	v_add_f64 v[83:84], v[32:33], v[36:37]
	v_fma_f64 v[158:159], v[136:137], s[50:51], v[128:129]
	v_fma_f64 v[160:161], v[136:137], s[28:29], v[130:131]
	;; [unrolled: 1-line block ×4, first 2 shown]
	v_add_f64 v[144:145], v[38:39], -v[34:35]
	v_add_f64 v[52:53], v[150:151], v[52:53]
	v_add_f64 v[54:55], v[152:153], v[54:55]
	;; [unrolled: 1-line block ×4, first 2 shown]
	v_fma_f64 v[152:153], v[142:143], s[28:29], v[134:135]
	v_mul_f64 v[140:141], v[83:84], s[16:17]
	v_mul_f64 v[146:147], v[83:84], s[18:19]
	;; [unrolled: 1-line block ×3, first 2 shown]
	v_fma_f64 v[154:155], v[142:143], s[44:45], v[138:139]
	v_fma_f64 v[164:165], v[142:143], s[34:35], v[156:157]
	;; [unrolled: 1-line block ×3, first 2 shown]
	v_add_f64 v[52:53], v[158:159], v[52:53]
	v_add_f64 v[54:55], v[160:161], v[54:55]
	;; [unrolled: 1-line block ×4, first 2 shown]
	v_fma_f64 v[148:149], v[144:145], s[36:37], v[140:141]
	v_fma_f64 v[158:159], v[144:145], s[56:57], v[146:147]
	;; [unrolled: 1-line block ×4, first 2 shown]
	v_add_f64 v[42:43], v[152:153], v[52:53]
	v_add_f64 v[52:53], v[154:155], v[54:55]
	;; [unrolled: 1-line block ×4, first 2 shown]
	v_mul_hi_u32 v40, 0xaaaaaaab, v76
	v_lshrrev_b32_e32 v95, 1, v40
	v_lshl_add_u32 v95, v95, 1, v95
	v_sub_nc_u32_e32 v76, v76, v95
	v_add_f64 v[42:43], v[148:149], v[42:43]
	v_add_f64 v[40:41], v[158:159], v[52:53]
	;; [unrolled: 1-line block ×4, first 2 shown]
	v_mul_u32_u24_e32 v76, 0x2a8, v76
	v_lshlrev_b32_e32 v148, 3, v76
	s_and_saveexec_b32 s0, s1
	s_cbranch_execz .LBB0_14
; %bb.13:
	v_add_f64 v[149:150], v[64:65], v[28:29]
	v_mul_f64 v[151:152], v[144:145], s[56:57]
	v_mul_f64 v[155:156], v[136:137], s[28:29]
	;; [unrolled: 1-line block ×21, first 2 shown]
	v_add_f64 v[149:150], v[68:69], v[149:150]
	v_mul_f64 v[185:186], v[116:117], s[46:47]
	v_mul_f64 v[189:190], v[116:117], s[28:29]
	v_mul_f64 v[193:194], v[116:117], s[26:27]
	v_mul_f64 v[197:198], v[116:117], s[42:43]
	v_mul_f64 v[116:117], v[116:117], s[50:51]
	v_add_f64 v[146:147], v[146:147], -v[151:152]
	v_add_f64 v[130:131], v[130:131], -v[155:156]
	;; [unrolled: 1-line block ×6, first 2 shown]
	v_fma_f64 v[151:152], v[77:78], s[18:19], v[179:180]
	v_fma_f64 v[155:156], v[77:78], s[18:19], -v[179:180]
	v_fma_f64 v[157:158], v[77:78], s[20:21], v[187:188]
	v_fma_f64 v[171:172], v[77:78], s[16:17], -v[191:192]
	v_fma_f64 v[173:174], v[77:78], s[22:23], -v[195:196]
	v_add_f64 v[108:109], v[108:109], -v[163:164]
	v_fma_f64 v[163:164], v[77:78], s[20:21], -v[187:188]
	v_add_f64 v[140:141], v[140:141], -v[167:168]
	v_add_f64 v[114:115], v[114:115], -v[177:178]
	v_fma_f64 v[167:168], v[77:78], s[16:17], v[191:192]
	v_add_f64 v[149:150], v[72:73], v[149:150]
	v_fma_f64 v[177:178], v[77:78], s[22:23], v[195:196]
	v_add_f64 v[110:111], v[110:111], -v[181:182]
	v_fma_f64 v[181:182], v[77:78], s[14:15], -v[81:82]
	v_fma_f64 v[76:77], v[77:78], s[14:15], v[81:82]
	v_mul_f64 v[199:200], v[122:123], s[44:45]
	v_mul_f64 v[201:202], v[122:123], s[34:35]
	v_mul_f64 v[203:204], v[122:123], s[40:41]
	v_mul_f64 v[205:206], v[122:123], s[26:27]
	v_mul_f64 v[122:123], v[122:123], s[54:55]
	v_add_f64 v[138:139], v[138:139], -v[153:154]
	v_add_f64 v[118:119], v[118:119], -v[159:160]
	;; [unrolled: 1-line block ×6, first 2 shown]
	v_fma_f64 v[153:154], v[79:80], s[6:7], v[185:186]
	v_fma_f64 v[159:160], v[79:80], s[6:7], -v[185:186]
	v_fma_f64 v[161:162], v[79:80], s[8:9], v[189:190]
	v_fma_f64 v[165:166], v[79:80], s[8:9], -v[189:190]
	;; [unrolled: 2-line block ×3, first 2 shown]
	v_add_f64 v[149:150], v[60:61], v[149:150]
	v_fma_f64 v[179:180], v[79:80], s[20:21], v[197:198]
	v_fma_f64 v[193:194], v[79:80], s[20:21], -v[197:198]
	v_fma_f64 v[195:196], v[79:80], s[22:23], v[116:117]
	v_fma_f64 v[78:79], v[79:80], s[22:23], -v[116:117]
	v_add_f64 v[104:105], v[104:105], v[28:29]
	v_add_f64 v[102:103], v[102:103], v[28:29]
	v_add_f64 v[116:117], v[151:152], v[28:29]
	v_add_f64 v[151:152], v[155:156], v[28:29]
	v_add_f64 v[155:156], v[157:158], v[28:29]
	v_add_f64 v[157:158], v[171:172], v[28:29]
	v_add_f64 v[171:172], v[173:174], v[28:29]
	v_add_f64 v[163:164], v[163:164], v[28:29]
	v_add_f64 v[167:168], v[167:168], v[28:29]
	v_add_f64 v[173:174], v[177:178], v[28:29]
	v_add_f64 v[177:178], v[181:182], v[28:29]
	v_add_f64 v[28:29], v[76:77], v[28:29]
	v_mul_f64 v[207:208], v[126:127], s[54:55]
	v_mul_f64 v[209:210], v[126:127], s[30:31]
	;; [unrolled: 1-line block ×4, first 2 shown]
	v_fma_f64 v[81:82], v[91:92], s[22:23], v[199:200]
	v_add_f64 v[149:150], v[56:57], v[149:150]
	v_fma_f64 v[183:184], v[91:92], s[22:23], -v[199:200]
	v_fma_f64 v[185:186], v[91:92], s[18:19], v[201:202]
	v_fma_f64 v[187:188], v[91:92], s[18:19], -v[201:202]
	v_fma_f64 v[189:190], v[91:92], s[8:9], v[203:204]
	v_fma_f64 v[191:192], v[91:92], s[8:9], -v[203:204]
	v_fma_f64 v[76:77], v[91:92], s[4:5], v[205:206]
	v_fma_f64 v[199:200], v[91:92], s[4:5], -v[205:206]
	v_fma_f64 v[201:202], v[91:92], s[16:17], v[122:123]
	v_fma_f64 v[91:92], v[91:92], s[16:17], -v[122:123]
	v_add_f64 v[104:105], v[108:109], v[104:105]
	v_add_f64 v[102:103], v[106:107], v[102:103]
	;; [unrolled: 1-line block ×10, first 2 shown]
	v_mul_f64 v[126:127], v[126:127], s[42:43]
	v_add_f64 v[78:79], v[78:79], v[177:178]
	v_add_f64 v[149:150], v[48:49], v[149:150]
	;; [unrolled: 1-line block ×3, first 2 shown]
	v_mul_f64 v[215:216], v[132:133], s[28:29]
	v_mul_f64 v[217:218], v[132:133], s[54:55]
	;; [unrolled: 1-line block ×4, first 2 shown]
	v_fma_f64 v[197:198], v[93:94], s[16:17], -v[207:208]
	v_fma_f64 v[203:204], v[93:94], s[14:15], v[209:210]
	v_fma_f64 v[159:160], v[93:94], s[18:19], -v[211:212]
	v_fma_f64 v[163:164], v[93:94], s[8:9], -v[213:214]
	v_add_f64 v[104:105], v[112:113], v[104:105]
	v_add_f64 v[102:103], v[110:111], v[102:103]
	;; [unrolled: 1-line block ×7, first 2 shown]
	v_fma_f64 v[205:206], v[93:94], s[14:15], -v[209:210]
	v_add_f64 v[116:117], v[187:188], v[153:154]
	v_fma_f64 v[181:182], v[93:94], s[16:17], v[207:208]
	v_fma_f64 v[207:208], v[93:94], s[18:19], v[211:212]
	;; [unrolled: 1-line block ×3, first 2 shown]
	v_add_f64 v[149:150], v[44:45], v[149:150]
	v_add_f64 v[122:123], v[189:190], v[155:156]
	;; [unrolled: 1-line block ×3, first 2 shown]
	v_mul_f64 v[132:133], v[132:133], s[56:57]
	v_fma_f64 v[165:166], v[93:94], s[20:21], v[126:127]
	v_fma_f64 v[93:94], v[93:94], s[20:21], -v[126:127]
	v_add_f64 v[78:79], v[91:92], v[78:79]
	v_add_f64 v[28:29], v[201:202], v[28:29]
	v_mul_f64 v[219:220], v[136:137], s[52:53]
	v_mul_f64 v[229:230], v[136:137], s[24:25]
	;; [unrolled: 1-line block ×4, first 2 shown]
	v_fma_f64 v[167:168], v[89:90], s[8:9], -v[215:216]
	v_fma_f64 v[169:170], v[89:90], s[16:17], v[217:218]
	v_fma_f64 v[153:154], v[89:90], s[22:23], -v[221:222]
	v_fma_f64 v[173:174], v[89:90], s[6:7], -v[223:224]
	v_add_f64 v[106:107], v[197:198], v[106:107]
	v_add_f64 v[108:109], v[203:204], v[108:109]
	;; [unrolled: 1-line block ×8, first 2 shown]
	v_fma_f64 v[126:127], v[89:90], s[8:9], v[215:216]
	v_add_f64 v[80:81], v[181:182], v[80:81]
	v_fma_f64 v[151:152], v[89:90], s[22:23], v[221:222]
	v_fma_f64 v[155:156], v[89:90], s[6:7], v[223:224]
	v_add_f64 v[116:117], v[207:208], v[122:123]
	v_add_f64 v[76:77], v[161:162], v[76:77]
	v_mul_f64 v[136:137], v[136:137], s[26:27]
	v_fma_f64 v[175:176], v[89:90], s[18:19], v[132:133]
	v_add_f64 v[78:79], v[93:94], v[78:79]
	v_add_f64 v[28:29], v[165:166], v[28:29]
	v_mul_f64 v[225:226], v[142:143], s[38:39]
	v_mul_f64 v[227:228], v[142:143], s[48:49]
	v_mul_f64 v[231:232], v[142:143], s[42:43]
	v_mul_f64 v[235:236], v[142:143], s[36:37]
	v_fma_f64 v[93:94], v[85:86], s[20:21], -v[219:220]
	v_fma_f64 v[118:119], v[85:86], s[6:7], v[229:230]
	v_fma_f64 v[161:162], v[85:86], s[14:15], -v[233:234]
	v_fma_f64 v[165:166], v[85:86], s[18:19], -v[237:238]
	v_add_f64 v[106:107], v[167:168], v[106:107]
	v_add_f64 v[108:109], v[169:170], v[108:109]
	;; [unrolled: 1-line block ×5, first 2 shown]
	v_fma_f64 v[122:123], v[85:86], s[6:7], -v[229:230]
	v_add_f64 v[104:105], v[124:125], v[104:105]
	v_add_f64 v[102:103], v[120:121], v[102:103]
	v_fma_f64 v[171:172], v[85:86], s[20:21], v[219:220]
	v_add_f64 v[80:81], v[126:127], v[80:81]
	v_fma_f64 v[159:160], v[85:86], s[14:15], v[233:234]
	v_fma_f64 v[163:164], v[85:86], s[18:19], v[237:238]
	v_add_f64 v[116:117], v[151:152], v[116:117]
	v_add_f64 v[76:77], v[155:156], v[76:77]
	v_mul_f64 v[142:143], v[142:143], s[24:25]
	v_fma_f64 v[177:178], v[85:86], s[4:5], v[136:137]
	v_fma_f64 v[85:86], v[85:86], s[4:5], -v[136:137]
	v_add_f64 v[28:29], v[175:176], v[28:29]
	v_mul_f64 v[239:240], v[144:145], s[26:27]
	v_mul_f64 v[241:242], v[144:145], s[44:45]
	;; [unrolled: 1-line block ×4, first 2 shown]
	v_fma_f64 v[126:127], v[87:88], s[20:21], -v[231:232]
	v_add_f64 v[93:94], v[93:94], v[106:107]
	v_add_f64 v[149:150], v[24:25], v[149:150]
	;; [unrolled: 1-line block ×5, first 2 shown]
	v_fma_f64 v[120:121], v[87:88], s[4:5], -v[227:228]
	v_add_f64 v[104:105], v[130:131], v[104:105]
	v_add_f64 v[102:103], v[128:129], v[102:103]
	v_fma_f64 v[157:158], v[87:88], s[14:15], v[225:226]
	v_add_f64 v[80:81], v[171:172], v[80:81]
	v_fma_f64 v[124:125], v[87:88], s[20:21], v[231:232]
	v_fma_f64 v[136:137], v[87:88], s[16:17], v[235:236]
	v_add_f64 v[76:77], v[163:164], v[76:77]
	v_mul_f64 v[144:145], v[144:145], s[28:29]
	v_fma_f64 v[151:152], v[87:88], s[6:7], v[142:143]
	v_add_f64 v[28:29], v[177:178], v[28:29]
	v_fma_f64 v[118:119], v[83:84], s[22:23], -v[241:242]
	v_fma_f64 v[128:129], v[83:84], s[6:7], -v[243:244]
	;; [unrolled: 1-line block ×3, first 2 shown]
	v_fma_f64 v[130:131], v[83:84], s[14:15], v[245:246]
	v_add_f64 v[91:92], v[20:21], v[149:150]
	v_fma_f64 v[149:150], v[89:90], s[16:17], -v[217:218]
	v_fma_f64 v[89:90], v[89:90], s[18:19], -v[132:133]
	;; [unrolled: 1-line block ×3, first 2 shown]
	v_add_f64 v[104:105], v[138:139], v[104:105]
	v_add_f64 v[102:103], v[134:135], v[102:103]
	v_add_f64 v[80:81], v[157:158], v[80:81]
	v_add_f64 v[76:77], v[136:137], v[76:77]
	v_fma_f64 v[155:156], v[83:84], s[8:9], v[144:145]
	v_add_f64 v[28:29], v[151:152], v[28:29]
	v_add_f64 v[91:92], v[16:17], v[91:92]
	;; [unrolled: 1-line block ×4, first 2 shown]
	v_fma_f64 v[149:150], v[87:88], s[16:17], -v[235:236]
	v_add_f64 v[93:94], v[132:133], v[93:94]
	v_add_f64 v[102:103], v[140:141], v[102:103]
	;; [unrolled: 1-line block ×5, first 2 shown]
	v_fma_f64 v[91:92], v[87:88], s[4:5], v[227:228]
	v_add_f64 v[112:113], v[122:123], v[114:115]
	v_add_f64 v[114:115], v[159:160], v[116:117]
	v_fma_f64 v[87:88], v[87:88], s[6:7], -v[142:143]
	v_add_f64 v[78:79], v[85:86], v[78:79]
	v_fma_f64 v[116:117], v[83:84], s[22:23], v[241:242]
	v_fma_f64 v[142:143], v[83:84], s[4:5], v[239:240]
	;; [unrolled: 1-line block ×3, first 2 shown]
	v_add_f64 v[85:86], v[8:9], v[89:90]
	v_fma_f64 v[89:90], v[83:84], s[4:5], -v[239:240]
	v_add_f64 v[91:92], v[91:92], v[106:107]
	v_add_f64 v[106:107], v[126:127], v[108:109]
	v_add_f64 v[108:109], v[149:150], v[110:111]
	v_add_f64 v[110:111], v[120:121], v[112:113]
	v_add_f64 v[112:113], v[124:125], v[114:115]
	v_fma_f64 v[82:83], v[83:84], s[8:9], -v[144:145]
	v_add_f64 v[78:79], v[87:88], v[78:79]
	v_add_f64 v[80:81], v[142:143], v[80:81]
	;; [unrolled: 1-line block ×12, first 2 shown]
	v_mul_u32_u24_e32 v84, 0x88, v100
	v_add3_u32 v84, 0, v84, v148
	ds_write2_b64 v84, v[52:53], v[54:55] offset0:8 offset1:9
	ds_write2_b64 v84, v[40:41], v[42:43] offset0:10 offset1:11
	;; [unrolled: 1-line block ×7, first 2 shown]
	ds_write2_b64 v84, v[82:83], v[78:79] offset1:1
	ds_write_b64 v84, v[28:29] offset:128
.LBB0_14:
	s_or_b32 exec_lo, exec_lo, s0
	v_lshlrev_b32_e32 v28, 3, v100
	s_waitcnt lgkmcnt(0)
	s_barrier
	buffer_gl0_inv
	v_cmp_gt_u32_e64 s0, 34, v100
	v_add_nc_u32_e32 v138, 0, v28
	v_add3_u32 v137, 0, v148, v28
	v_add_nc_u32_e32 v136, v138, v148
	v_add_nc_u32_e32 v88, 0x400, v136
	;; [unrolled: 1-line block ×3, first 2 shown]
	ds_read2_b64 v[84:87], v136 offset0:68 offset1:170
	ds_read2_b64 v[80:83], v88 offset0:110 offset1:212
	;; [unrolled: 1-line block ×3, first 2 shown]
	ds_read_b64 v[28:29], v137
	ds_read_b64 v[102:103], v136 offset:4624
	s_and_saveexec_b32 s4, s0
	s_cbranch_execz .LBB0_16
; %bb.15:
	v_add_nc_u32_e32 v40, 0xe00, v136
	ds_read2_b64 v[52:55], v88 offset0:8 offset1:178
	ds_read2_b64 v[40:43], v40 offset0:28 offset1:198
.LBB0_16:
	s_or_b32 exec_lo, exec_lo, s4
	v_add_f64 v[64:65], v[64:65], -v[0:1]
	s_mov_b32 s24, 0x6c9a05f6
	s_mov_b32 s26, 0x4363dd80
	;; [unrolled: 1-line block ×6, first 2 shown]
	v_add_f64 v[0:1], v[66:67], v[2:3]
	v_add_f64 v[106:107], v[68:69], -v[4:5]
	s_mov_b32 s4, 0x6ed5f1bb
	s_mov_b32 s38, 0x923c349f
	s_mov_b32 s30, 0x5d8e7cdc
	s_mov_b32 s5, 0xbfe348c8
	s_mov_b32 s39, 0x3feec746
	s_mov_b32 s31, 0x3fd71e95
	v_add_f64 v[4:5], v[70:71], v[6:7]
	v_add_f64 v[110:111], v[72:73], -v[8:9]
	s_mov_b32 s22, 0xc61f0d01
	s_mov_b32 s23, 0xbfd183b1
	;; [unrolled: 1-line block ×4, first 2 shown]
	v_add_f64 v[8:9], v[10:11], v[74:75]
	v_mul_f64 v[68:69], v[64:65], s[24:25]
	v_mul_f64 v[104:105], v[64:65], s[26:27]
	;; [unrolled: 1-line block ×3, first 2 shown]
	v_add_f64 v[118:119], v[60:61], -v[12:13]
	s_mov_b32 s18, 0x3259b75e
	s_mov_b32 s40, 0x2a9d6da3
	;; [unrolled: 1-line block ×4, first 2 shown]
	v_mul_f64 v[108:109], v[106:107], s[38:39]
	v_mul_f64 v[72:73], v[106:107], s[36:37]
	;; [unrolled: 1-line block ×3, first 2 shown]
	s_mov_b32 s41, 0x3fe58eea
	s_mov_b32 s44, s24
	v_add_f64 v[12:13], v[14:15], v[62:63]
	v_add_f64 v[128:129], v[56:57], -v[16:17]
	s_mov_b32 s20, 0x75d4884
	v_mul_f64 v[116:117], v[110:111], s[34:35]
	v_mul_f64 v[114:115], v[110:111], s[42:43]
	v_mul_f64 v[60:61], v[110:111], s[26:27]
	s_mov_b32 s21, 0x3fe7a5f6
	s_mov_b32 s47, 0x3fefdd0d
	;; [unrolled: 1-line block ×3, first 2 shown]
	v_fma_f64 v[92:93], v[0:1], s[4:5], -v[68:69]
	v_fma_f64 v[94:95], v[0:1], s[6:7], -v[104:105]
	v_fma_f64 v[112:113], v[0:1], s[8:9], v[88:89]
	v_fma_f64 v[88:89], v[0:1], s[8:9], -v[88:89]
	v_mul_f64 v[122:123], v[118:119], s[26:27]
	v_mul_f64 v[120:121], v[118:119], s[44:45]
	;; [unrolled: 1-line block ×3, first 2 shown]
	v_add_f64 v[16:17], v[58:59], v[18:19]
	v_fma_f64 v[124:125], v[4:5], s[22:23], -v[108:109]
	v_fma_f64 v[126:127], v[4:5], s[16:17], -v[72:73]
	v_fma_f64 v[130:131], v[4:5], s[14:15], v[90:91]
	v_fma_f64 v[90:91], v[4:5], s[14:15], -v[90:91]
	v_add_f64 v[134:135], v[48:49], -v[20:21]
	s_mov_b32 s53, 0xbfe58eea
	s_mov_b32 s52, s40
	v_add_f64 v[20:21], v[50:51], v[22:23]
	v_fma_f64 v[132:133], v[8:9], s[14:15], -v[116:117]
	v_fma_f64 v[139:140], v[8:9], s[18:19], -v[114:115]
	v_fma_f64 v[141:142], v[8:9], s[6:7], v[60:61]
	v_fma_f64 v[60:61], v[8:9], s[6:7], -v[60:61]
	s_mov_b32 s49, 0xbfeec746
	s_mov_b32 s48, s38
	v_add_f64 v[92:93], v[92:93], v[30:31]
	v_add_f64 v[94:95], v[94:95], v[30:31]
	;; [unrolled: 1-line block ×4, first 2 shown]
	v_fma_f64 v[143:144], v[12:13], s[6:7], -v[122:123]
	v_fma_f64 v[145:146], v[12:13], s[4:5], -v[120:121]
	v_fma_f64 v[149:150], v[12:13], s[20:21], v[56:57]
	v_fma_f64 v[151:152], v[12:13], s[20:21], -v[56:57]
	s_waitcnt lgkmcnt(0)
	s_barrier
	buffer_gl0_inv
	v_mul_f64 v[48:49], v[134:135], s[52:53]
	v_mul_f64 v[56:57], v[134:135], s[28:29]
	v_add_f64 v[92:93], v[124:125], v[92:93]
	v_add_f64 v[94:95], v[126:127], v[94:95]
	;; [unrolled: 1-line block ×4, first 2 shown]
	v_mul_f64 v[126:127], v[128:129], s[46:47]
	v_mul_f64 v[124:125], v[128:129], s[34:35]
	;; [unrolled: 1-line block ×3, first 2 shown]
	v_add_f64 v[130:131], v[44:45], -v[24:25]
	v_mul_f64 v[24:25], v[134:135], s[36:37]
	v_add_f64 v[44:45], v[26:27], v[46:47]
	v_fma_f64 v[153:154], v[20:21], s[8:9], -v[56:57]
	v_add_f64 v[92:93], v[132:133], v[92:93]
	v_add_f64 v[94:95], v[139:140], v[94:95]
	v_add_f64 v[112:113], v[141:142], v[112:113]
	v_add_f64 v[60:61], v[60:61], v[88:89]
	v_fma_f64 v[88:89], v[16:17], s[18:19], -v[126:127]
	v_fma_f64 v[139:140], v[16:17], s[14:15], -v[124:125]
	v_fma_f64 v[141:142], v[16:17], s[4:5], v[90:91]
	v_fma_f64 v[90:91], v[16:17], s[4:5], -v[90:91]
	v_add_f64 v[132:133], v[36:37], -v[32:33]
	v_fma_f64 v[155:156], v[20:21], s[16:17], v[24:25]
	v_fma_f64 v[157:158], v[20:21], s[16:17], -v[24:25]
	v_add_f64 v[36:37], v[34:35], v[38:39]
	v_add_f64 v[92:93], v[143:144], v[92:93]
	;; [unrolled: 1-line block ×5, first 2 shown]
	v_mul_f64 v[60:61], v[130:131], s[28:29]
	v_mul_f64 v[112:113], v[130:131], s[40:41]
	;; [unrolled: 1-line block ×3, first 2 shown]
	v_fma_f64 v[151:152], v[20:21], s[20:21], -v[48:49]
	v_mul_f64 v[32:33], v[132:133], s[36:37]
	v_mul_f64 v[24:25], v[132:133], s[48:49]
	v_add_f64 v[88:89], v[88:89], v[92:93]
	v_add_f64 v[92:93], v[139:140], v[94:95]
	;; [unrolled: 1-line block ×4, first 2 shown]
	v_mul_f64 v[139:140], v[132:133], s[46:47]
	v_fma_f64 v[141:142], v[44:45], s[8:9], -v[60:61]
	v_fma_f64 v[143:144], v[44:45], s[20:21], -v[112:113]
	v_fma_f64 v[145:146], v[44:45], s[22:23], v[149:150]
	v_fma_f64 v[149:150], v[44:45], s[22:23], -v[149:150]
	v_add_f64 v[88:89], v[151:152], v[88:89]
	v_add_f64 v[92:93], v[153:154], v[92:93]
	;; [unrolled: 1-line block ×4, first 2 shown]
	v_fma_f64 v[151:152], v[36:37], s[16:17], -v[32:33]
	v_fma_f64 v[153:154], v[36:37], s[22:23], -v[24:25]
	v_fma_f64 v[155:156], v[36:37], s[18:19], v[139:140]
	v_fma_f64 v[139:140], v[36:37], s[18:19], -v[139:140]
	v_add_f64 v[88:89], v[141:142], v[88:89]
	v_add_f64 v[92:93], v[143:144], v[92:93]
	v_add_f64 v[141:142], v[145:146], v[94:95]
	v_add_f64 v[90:91], v[149:150], v[90:91]
	v_add_f64 v[94:95], v[151:152], v[88:89]
	v_add_f64 v[92:93], v[153:154], v[92:93]
	v_add_f64 v[88:89], v[155:156], v[141:142]
	v_add_f64 v[90:91], v[139:140], v[90:91]
	s_and_saveexec_b32 s33, s1
	s_cbranch_execz .LBB0_18
; %bb.17:
	v_add_f64 v[66:67], v[66:67], v[30:31]
	v_mul_f64 v[159:160], v[64:65], s[34:35]
	v_mul_f64 v[165:166], v[64:65], s[52:53]
	;; [unrolled: 1-line block ×6, first 2 shown]
	s_mov_b32 s51, 0xbfeca52d
	s_mov_b32 s50, s36
	v_mul_f64 v[175:176], v[106:107], s[52:53]
	v_mul_f64 v[64:65], v[64:65], s[50:51]
	s_mov_b32 s53, 0x3fe0d888
	s_mov_b32 s52, s26
	v_mul_f64 v[143:144], v[4:5], s[22:23]
	v_mul_f64 v[153:154], v[12:13], s[6:7]
	;; [unrolled: 1-line block ×9, first 2 shown]
	v_add_f64 v[66:67], v[70:71], v[66:67]
	v_mul_f64 v[189:190], v[118:119], s[28:29]
	v_mul_f64 v[191:192], v[118:119], s[38:39]
	;; [unrolled: 1-line block ×3, first 2 shown]
	v_fma_f64 v[227:228], v[0:1], s[14:15], v[159:160]
	v_fma_f64 v[229:230], v[0:1], s[20:21], v[165:166]
	v_fma_f64 v[165:166], v[0:1], s[20:21], -v[165:166]
	v_fma_f64 v[231:232], v[0:1], s[18:19], v[167:168]
	v_fma_f64 v[167:168], v[0:1], s[18:19], -v[167:168]
	v_fma_f64 v[233:234], v[0:1], s[22:23], v[171:172]
	v_mul_f64 v[145:146], v[4:5], s[16:17]
	v_add_f64 v[68:69], v[139:140], v[68:69]
	v_add_f64 v[104:105], v[141:142], v[104:105]
	v_fma_f64 v[171:172], v[0:1], s[22:23], -v[171:172]
	v_fma_f64 v[235:236], v[0:1], s[16:17], v[64:65]
	v_fma_f64 v[159:160], v[0:1], s[14:15], -v[159:160]
	v_fma_f64 v[0:1], v[0:1], s[16:17], -v[64:65]
	s_mov_b32 s55, 0x3fc7851a
	s_mov_b32 s54, s28
	v_mul_f64 v[149:150], v[8:9], s[14:15]
	v_mul_f64 v[151:152], v[8:9], s[18:19]
	;; [unrolled: 1-line block ×3, first 2 shown]
	v_add_f64 v[66:67], v[74:75], v[66:67]
	v_mul_f64 v[185:186], v[110:111], s[40:41]
	v_mul_f64 v[223:224], v[110:111], s[50:51]
	v_fma_f64 v[139:140], v[4:5], s[20:21], v[175:176]
	v_fma_f64 v[141:142], v[4:5], s[18:19], v[177:178]
	v_add_f64 v[108:109], v[143:144], v[108:109]
	v_fma_f64 v[143:144], v[4:5], s[8:9], v[181:182]
	v_fma_f64 v[181:182], v[4:5], s[8:9], -v[181:182]
	v_add_f64 v[122:123], v[153:154], v[122:123]
	v_fma_f64 v[153:154], v[12:13], s[18:19], v[187:188]
	v_add_f64 v[64:65], v[155:156], v[120:121]
	v_fma_f64 v[120:121], v[12:13], s[8:9], v[189:190]
	v_fma_f64 v[155:156], v[12:13], s[8:9], -v[189:190]
	v_add_f64 v[126:127], v[157:158], v[126:127]
	v_fma_f64 v[157:158], v[12:13], s[22:23], v[191:192]
	v_add_f64 v[124:125], v[163:164], v[124:125]
	v_fma_f64 v[163:164], v[4:5], s[6:7], v[106:107]
	v_add_f64 v[189:190], v[229:230], v[30:31]
	v_add_f64 v[165:166], v[165:166], v[30:31]
	;; [unrolled: 1-line block ×10, first 2 shown]
	v_mul_f64 v[193:194], v[118:119], s[30:31]
	v_mul_f64 v[118:119], v[118:119], s[50:51]
	v_fma_f64 v[145:146], v[8:9], s[4:5], v[183:184]
	v_fma_f64 v[183:184], v[8:9], s[4:5], -v[183:184]
	v_add_f64 v[116:117], v[149:150], v[116:117]
	v_add_f64 v[114:115], v[151:152], v[114:115]
	v_fma_f64 v[151:152], v[8:9], s[20:21], v[185:186]
	v_fma_f64 v[185:186], v[8:9], s[20:21], -v[185:186]
	v_mul_f64 v[195:196], v[128:129], s[48:49]
	v_mul_f64 v[197:198], v[128:129], s[40:41]
	;; [unrolled: 1-line block ×8, first 2 shown]
	v_add_f64 v[68:69], v[108:109], v[68:69]
	v_add_f64 v[58:59], v[58:59], v[161:162]
	v_mul_f64 v[161:162], v[110:111], s[38:39]
	v_mul_f64 v[110:111], v[110:111], s[54:55]
	v_add_f64 v[72:73], v[72:73], v[104:105]
	v_mul_f64 v[207:208], v[134:135], s[26:27]
	v_mul_f64 v[134:135], v[134:135], s[46:47]
	;; [unrolled: 1-line block ×11, first 2 shown]
	v_fma_f64 v[108:109], v[16:17], s[8:9], -v[199:200]
	v_mul_f64 v[217:218], v[132:133], s[28:29]
	v_mul_f64 v[219:220], v[132:133], s[30:31]
	;; [unrolled: 1-line block ×5, first 2 shown]
	v_add_f64 v[68:69], v[116:117], v[68:69]
	v_add_f64 v[50:51], v[50:51], v[58:59]
	v_fma_f64 v[149:150], v[8:9], s[22:23], v[161:162]
	v_fma_f64 v[161:162], v[8:9], s[22:23], -v[161:162]
	v_fma_f64 v[235:236], v[8:9], s[8:9], v[110:111]
	v_add_f64 v[72:73], v[114:115], v[72:73]
	v_fma_f64 v[114:115], v[20:21], s[6:7], v[207:208]
	v_fma_f64 v[116:117], v[20:21], s[6:7], -v[207:208]
	v_mul_f64 v[58:59], v[132:133], s[26:27]
	v_mul_f64 v[132:133], v[132:133], s[24:25]
	v_add_f64 v[60:61], v[70:71], v[60:61]
	v_add_f64 v[70:71], v[173:174], v[112:113]
	v_fma_f64 v[112:113], v[36:37], s[8:9], v[217:218]
	v_add_f64 v[32:33], v[66:67], v[32:33]
	v_add_f64 v[24:25], v[62:63], v[24:25]
	;; [unrolled: 1-line block ×4, first 2 shown]
	v_fma_f64 v[50:51], v[4:5], s[20:21], -v[175:176]
	v_fma_f64 v[175:176], v[4:5], s[18:19], -v[177:178]
	v_fma_f64 v[177:178], v[4:5], s[4:5], v[179:180]
	v_fma_f64 v[179:180], v[4:5], s[4:5], -v[179:180]
	v_fma_f64 v[4:5], v[4:5], s[6:7], -v[106:107]
	v_add_f64 v[106:107], v[227:228], v[30:31]
	v_add_f64 v[227:228], v[233:234], v[30:31]
	v_fma_f64 v[233:234], v[8:9], s[16:17], v[223:224]
	v_fma_f64 v[223:224], v[8:9], s[16:17], -v[223:224]
	v_fma_f64 v[8:9], v[8:9], s[8:9], -v[110:111]
	v_add_f64 v[110:111], v[141:142], v[189:190]
	v_add_f64 v[64:65], v[64:65], v[72:73]
	v_fma_f64 v[72:73], v[44:45], s[16:17], v[211:212]
	v_fma_f64 v[122:123], v[44:45], s[18:19], -v[213:214]
	v_add_f64 v[68:69], v[126:127], v[68:69]
	v_add_f64 v[38:39], v[38:39], v[46:47]
	v_fma_f64 v[46:47], v[12:13], s[18:19], -v[187:188]
	v_fma_f64 v[187:188], v[12:13], s[22:23], -v[191:192]
	v_add_f64 v[191:192], v[231:232], v[30:31]
	v_add_f64 v[30:31], v[159:160], v[30:31]
	;; [unrolled: 1-line block ×8, first 2 shown]
	v_fma_f64 v[159:160], v[12:13], s[14:15], -v[193:194]
	v_fma_f64 v[177:178], v[12:13], s[16:17], v[118:119]
	v_add_f64 v[110:111], v[145:146], v[110:111]
	v_fma_f64 v[231:232], v[16:17], s[20:21], v[197:198]
	v_fma_f64 v[145:146], v[20:21], s[18:19], v[134:135]
	v_add_f64 v[64:65], v[124:125], v[64:65]
	v_fma_f64 v[165:166], v[20:21], s[4:5], v[201:202]
	v_fma_f64 v[171:172], v[20:21], s[22:23], v[203:204]
	v_fma_f64 v[175:176], v[20:21], s[22:23], -v[203:204]
	v_fma_f64 v[124:125], v[36:37], s[14:15], v[219:220]
	v_add_f64 v[34:35], v[34:35], v[38:39]
	v_fma_f64 v[38:39], v[12:13], s[14:15], v[193:194]
	v_fma_f64 v[12:13], v[12:13], s[16:17], -v[118:119]
	v_add_f64 v[141:142], v[143:144], v[191:192]
	v_add_f64 v[143:144], v[181:182], v[167:168]
	;; [unrolled: 1-line block ×8, first 2 shown]
	v_fma_f64 v[193:194], v[16:17], s[22:23], v[195:196]
	v_fma_f64 v[195:196], v[16:17], s[22:23], -v[195:196]
	v_fma_f64 v[50:51], v[16:17], s[8:9], v[199:200]
	v_add_f64 v[110:111], v[120:121], v[110:111]
	v_fma_f64 v[167:168], v[20:21], s[4:5], -v[201:202]
	v_add_f64 v[26:27], v[26:27], v[34:35]
	v_fma_f64 v[34:35], v[16:17], s[20:21], -v[197:198]
	v_add_f64 v[139:140], v[149:150], v[141:142]
	v_add_f64 v[141:142], v[161:162], v[143:144]
	;; [unrolled: 1-line block ×3, first 2 shown]
	v_fma_f64 v[149:150], v[16:17], s[6:7], v[225:226]
	v_fma_f64 v[151:152], v[16:17], s[6:7], -v[225:226]
	v_fma_f64 v[161:162], v[16:17], s[16:17], v[128:129]
	v_fma_f64 v[16:17], v[16:17], s[16:17], -v[128:129]
	v_add_f64 v[4:5], v[12:13], v[4:5]
	v_add_f64 v[12:13], v[157:158], v[104:105]
	;; [unrolled: 1-line block ×5, first 2 shown]
	v_fma_f64 v[104:105], v[44:45], s[18:19], v[213:214]
	v_add_f64 v[8:9], v[22:23], v[26:27]
	v_add_f64 v[22:23], v[223:224], v[30:31]
	v_fma_f64 v[26:27], v[20:21], s[14:15], v[205:206]
	v_add_f64 v[38:39], v[38:39], v[139:140]
	v_add_f64 v[120:121], v[159:160], v[141:142]
	;; [unrolled: 1-line block ×3, first 2 shown]
	v_fma_f64 v[30:31], v[20:21], s[14:15], -v[205:206]
	v_fma_f64 v[20:21], v[20:21], s[18:19], -v[134:135]
	v_add_f64 v[110:111], v[149:150], v[110:111]
	v_add_f64 v[4:5], v[108:109], v[4:5]
	;; [unrolled: 1-line block ×6, first 2 shown]
	v_fma_f64 v[34:35], v[44:45], s[4:5], -v[215:216]
	v_fma_f64 v[108:109], v[44:45], s[14:15], v[130:131]
	v_add_f64 v[8:9], v[18:19], v[8:9]
	v_add_f64 v[18:19], v[46:47], v[22:23]
	;; [unrolled: 1-line block ×7, first 2 shown]
	v_fma_f64 v[48:49], v[44:45], s[6:7], v[209:210]
	v_fma_f64 v[56:57], v[44:45], s[6:7], -v[209:210]
	v_fma_f64 v[74:75], v[44:45], s[16:17], -v[211:212]
	v_add_f64 v[4:5], v[20:21], v[4:5]
	v_add_f64 v[110:111], v[171:172], v[110:111]
	;; [unrolled: 1-line block ×6, first 2 shown]
	v_fma_f64 v[30:31], v[36:37], s[20:21], v[221:222]
	v_fma_f64 v[120:121], v[36:37], s[8:9], -v[217:218]
	v_fma_f64 v[20:21], v[36:37], s[6:7], v[58:59]
	v_fma_f64 v[26:27], v[36:37], s[6:7], -v[58:59]
	v_fma_f64 v[58:59], v[36:37], s[20:21], -v[221:222]
	v_add_f64 v[8:9], v[14:15], v[8:9]
	v_add_f64 v[14:15], v[195:196], v[18:19]
	v_fma_f64 v[18:19], v[44:45], s[4:5], v[215:216]
	v_add_f64 v[38:39], v[114:115], v[38:39]
	v_add_f64 v[16:17], v[116:117], v[16:17]
	v_add_f64 v[50:51], v[145:146], v[50:51]
	v_add_f64 v[22:23], v[22:23], v[68:69]
	v_add_f64 v[46:47], v[46:47], v[64:65]
	v_fma_f64 v[44:45], v[44:45], s[14:15], -v[130:131]
	v_fma_f64 v[64:65], v[36:37], s[4:5], v[132:133]
	v_add_f64 v[62:63], v[72:73], v[110:111]
	v_add_f64 v[12:13], v[104:105], v[12:13]
	v_add_f64 v[66:67], v[74:75], v[118:119]
	v_add_f64 v[0:1], v[122:123], v[0:1]
	v_add_f64 v[48:49], v[48:49], v[106:107]
	v_add_f64 v[8:9], v[10:11], v[8:9]
	v_add_f64 v[10:11], v[167:168], v[14:15]
	v_fma_f64 v[14:15], v[36:37], s[14:15], -v[219:220]
	v_add_f64 v[18:19], v[18:19], v[38:39]
	v_add_f64 v[16:17], v[34:35], v[16:17]
	;; [unrolled: 1-line block ×5, first 2 shown]
	v_fma_f64 v[36:37], v[36:37], s[4:5], -v[132:133]
	v_add_f64 v[4:5], v[44:45], v[4:5]
	v_add_f64 v[44:45], v[124:125], v[62:63]
	;; [unrolled: 1-line block ×16, first 2 shown]
	v_lshlrev_b32_e32 v8, 7, v100
	v_add3_u32 v8, v138, v8, v148
	ds_write2_b64 v8, v[88:89], v[90:91] offset0:8 offset1:9
	ds_write2_b64 v8, v[92:93], v[94:95] offset0:10 offset1:11
	;; [unrolled: 1-line block ×7, first 2 shown]
	ds_write2_b64 v8, v[2:3], v[10:11] offset1:1
	ds_write_b64 v8, v[6:7] offset:128
.LBB0_18:
	s_or_b32 exec_lo, exec_lo, s33
	v_add_nc_u32_e32 v12, 0x400, v136
	v_add_nc_u32_e32 v8, 0x800, v136
	s_waitcnt lgkmcnt(0)
	s_barrier
	buffer_gl0_inv
	ds_read2_b64 v[0:3], v136 offset0:68 offset1:170
	ds_read2_b64 v[4:7], v12 offset0:110 offset1:212
	;; [unrolled: 1-line block ×3, first 2 shown]
	ds_read_b64 v[24:25], v137
	ds_read_b64 v[26:27], v136 offset:4624
	s_and_saveexec_b32 s1, s0
	s_cbranch_execz .LBB0_20
; %bb.19:
	v_add_nc_u32_e32 v13, 0xe00, v136
	ds_read2_b64 v[88:91], v12 offset0:8 offset1:178
	ds_read2_b64 v[92:95], v13 offset0:28 offset1:198
.LBB0_20:
	s_or_b32 exec_lo, exec_lo, s1
	v_add_nc_u16 v12, v100, 0x44
	v_and_b32_e32 v13, 0xff, v100
	v_mov_b32_e32 v45, 3
	v_and_b32_e32 v14, 0xff, v12
	v_mul_lo_u16 v13, 0xf1, v13
	v_mul_lo_u16 v14, 0xf1, v14
	v_lshrrev_b16 v104, 12, v13
	v_lshrrev_b16 v105, 12, v14
	v_mul_lo_u16 v13, v104, 17
	v_mul_lo_u16 v14, v105, 17
	v_sub_nc_u16 v106, v100, v13
	v_sub_nc_u16 v107, v12, v14
	v_mul_u32_u24_sdwa v12, v106, v45 dst_sel:DWORD dst_unused:UNUSED_PAD src0_sel:BYTE_0 src1_sel:DWORD
	v_mul_u32_u24_sdwa v13, v107, v45 dst_sel:DWORD dst_unused:UNUSED_PAD src0_sel:BYTE_0 src1_sel:DWORD
	v_lshlrev_b32_e32 v16, 4, v12
	v_lshlrev_b32_e32 v17, 4, v13
	s_clause 0x5
	global_load_dwordx4 v[30:33], v16, s[12:13]
	global_load_dwordx4 v[12:15], v16, s[12:13] offset:16
	global_load_dwordx4 v[34:37], v16, s[12:13] offset:32
	global_load_dwordx4 v[46:49], v17, s[12:13]
	global_load_dwordx4 v[20:23], v17, s[12:13] offset:16
	global_load_dwordx4 v[56:59], v17, s[12:13] offset:32
	v_add_nc_u16 v16, v100, 0x88
	v_and_b32_e32 v17, 0xff, v16
	v_mul_lo_u16 v17, 0xf1, v17
	v_lshrrev_b16 v108, 12, v17
	v_mul_lo_u16 v17, v108, 17
	v_sub_nc_u16 v44, v16, v17
	v_mul_u32_u24_sdwa v16, v44, v45 dst_sel:DWORD dst_unused:UNUSED_PAD src0_sel:BYTE_0 src1_sel:DWORD
	v_lshlrev_b32_e32 v16, 4, v16
	s_clause 0x2
	global_load_dwordx4 v[60:63], v16, s[12:13]
	global_load_dwordx4 v[64:67], v16, s[12:13] offset:32
	global_load_dwordx4 v[16:19], v16, s[12:13] offset:16
	s_waitcnt vmcnt(0) lgkmcnt(0)
	s_barrier
	buffer_gl0_inv
	v_mul_f64 v[38:39], v[2:3], v[32:33]
	v_mul_f64 v[50:51], v[6:7], v[14:15]
	;; [unrolled: 1-line block ×10, first 2 shown]
	v_fma_f64 v[38:39], v[86:87], v[30:31], -v[38:39]
	v_fma_f64 v[50:51], v[82:83], v[12:13], -v[50:51]
	;; [unrolled: 1-line block ×6, first 2 shown]
	v_fma_f64 v[2:3], v[2:3], v[30:31], v[32:33]
	v_fma_f64 v[30:31], v[10:11], v[34:35], v[36:37]
	v_fma_f64 v[4:5], v[4:5], v[46:47], v[48:49]
	v_fma_f64 v[26:27], v[26:27], v[56:57], v[58:59]
	v_mul_f64 v[56:57], v[54:55], v[62:63]
	v_add_f64 v[46:47], v[28:29], -v[50:51]
	v_add_f64 v[10:11], v[38:39], -v[68:69]
	v_mul_f64 v[50:51], v[90:91], v[62:63]
	v_add_f64 v[48:49], v[84:85], -v[72:73]
	v_add_f64 v[32:33], v[70:71], -v[74:75]
	v_mul_f64 v[68:69], v[94:95], v[66:67]
	v_add_f64 v[36:37], v[2:3], -v[30:31]
	v_mul_f64 v[66:67], v[42:43], v[66:67]
	v_add_f64 v[34:35], v[4:5], -v[26:27]
	v_fma_f64 v[26:27], v[90:91], v[60:61], v[56:57]
	v_fma_f64 v[28:29], v[28:29], 2.0, -v[46:47]
	v_fma_f64 v[30:31], v[38:39], 2.0, -v[10:11]
	v_fma_f64 v[38:39], v[54:55], v[60:61], -v[50:51]
	v_fma_f64 v[58:59], v[84:85], 2.0, -v[48:49]
	v_fma_f64 v[62:63], v[70:71], 2.0, -v[32:33]
	v_add_f64 v[50:51], v[46:47], -v[36:37]
	v_add_f64 v[54:55], v[48:49], -v[34:35]
	;; [unrolled: 1-line block ×3, first 2 shown]
	v_fma_f64 v[30:31], v[42:43], v[64:65], -v[68:69]
	v_fma_f64 v[42:43], v[94:95], v[64:65], v[66:67]
	v_add_f64 v[60:61], v[58:59], -v[62:63]
	v_lshlrev_b32_sdwa v66, v45, v107 dst_sel:DWORD dst_unused:UNUSED_PAD src0_sel:DWORD src1_sel:BYTE_0
	v_fma_f64 v[62:63], v[46:47], 2.0, -v[50:51]
	v_fma_f64 v[47:48], v[48:49], 2.0, -v[54:55]
	v_lshlrev_b32_sdwa v49, v45, v106 dst_sel:DWORD dst_unused:UNUSED_PAD src0_sel:DWORD src1_sel:BYTE_0
	v_fma_f64 v[64:65], v[28:29], 2.0, -v[56:57]
	v_add_f64 v[28:29], v[38:39], -v[30:31]
	v_add_f64 v[30:31], v[26:27], -v[42:43]
	v_fma_f64 v[58:59], v[58:59], 2.0, -v[60:61]
	v_and_b32_e32 v42, 0xffff, v104
	v_and_b32_e32 v43, 0xffff, v105
	v_mad_u32_u24 v46, 0x220, v42, 0
	v_mad_u32_u24 v43, 0x220, v43, 0
	v_and_b32_e32 v42, 0xffff, v108
	v_add3_u32 v46, v46, v49, v148
	v_add3_u32 v43, v43, v66, v148
	ds_write2_b64 v46, v[56:57], v[50:51] offset0:34 offset1:51
	ds_write2_b64 v46, v[64:65], v[62:63] offset1:17
	ds_write2_b64 v43, v[58:59], v[47:48] offset1:17
	ds_write2_b64 v43, v[60:61], v[54:55] offset0:34 offset1:51
	s_and_saveexec_b32 s1, s0
	s_cbranch_execz .LBB0_22
; %bb.21:
	v_mul_f64 v[47:48], v[92:93], v[18:19]
	v_fma_f64 v[38:39], v[38:39], 2.0, -v[28:29]
	v_lshlrev_b32_sdwa v45, v45, v44 dst_sel:DWORD dst_unused:UNUSED_PAD src0_sel:DWORD src1_sel:BYTE_0
	v_fma_f64 v[47:48], v[40:41], v[16:17], -v[47:48]
	v_add_f64 v[47:48], v[52:53], -v[47:48]
	v_fma_f64 v[49:50], v[52:53], 2.0, -v[47:48]
	v_add_f64 v[51:52], v[47:48], -v[30:31]
	v_mad_u32_u24 v53, 0x220, v42, 0
	v_add3_u32 v45, v53, v45, v148
	v_add_f64 v[38:39], v[49:50], -v[38:39]
	v_fma_f64 v[47:48], v[47:48], 2.0, -v[51:52]
	v_fma_f64 v[49:50], v[49:50], 2.0, -v[38:39]
	ds_write2_b64 v45, v[49:50], v[47:48] offset1:17
	ds_write2_b64 v45, v[38:39], v[51:52] offset0:34 offset1:51
.LBB0_22:
	s_or_b32 exec_lo, exec_lo, s1
	v_mul_f64 v[14:15], v[82:83], v[14:15]
	v_mul_f64 v[22:23], v[76:77], v[22:23]
	v_fma_f64 v[2:3], v[2:3], 2.0, -v[36:37]
	v_fma_f64 v[4:5], v[4:5], 2.0, -v[34:35]
	v_add_nc_u32_e32 v45, 0xc00, v136
	s_waitcnt lgkmcnt(0)
	s_barrier
	buffer_gl0_inv
	v_fma_f64 v[6:7], v[6:7], v[12:13], v[14:15]
	v_fma_f64 v[8:9], v[8:9], v[20:21], v[22:23]
	v_add_f64 v[6:7], v[24:25], -v[6:7]
	v_add_f64 v[8:9], v[0:1], -v[8:9]
	v_fma_f64 v[12:13], v[24:25], 2.0, -v[6:7]
	v_fma_f64 v[14:15], v[0:1], 2.0, -v[8:9]
	v_add_f64 v[24:25], v[6:7], v[10:11]
	v_add_f64 v[32:33], v[8:9], v[32:33]
	v_add_f64 v[34:35], v[12:13], -v[2:3]
	v_add_f64 v[36:37], v[14:15], -v[4:5]
	v_add_nc_u32_e32 v4, 0x400, v136
	v_add_nc_u32_e32 v5, 0x800, v136
	ds_read2_b64 v[0:3], v136 offset0:68 offset1:136
	v_fma_f64 v[38:39], v[6:7], 2.0, -v[24:25]
	v_fma_f64 v[47:48], v[8:9], 2.0, -v[32:33]
	;; [unrolled: 1-line block ×4, first 2 shown]
	ds_read_b64 v[20:21], v137
	ds_read_b64 v[22:23], v136 offset:4896
	ds_read2_b64 v[8:11], v4 offset0:76 offset1:144
	ds_read2_b64 v[12:15], v5 offset0:84 offset1:152
	;; [unrolled: 1-line block ×3, first 2 shown]
	s_waitcnt lgkmcnt(0)
	s_barrier
	buffer_gl0_inv
	ds_write2_b64 v46, v[34:35], v[24:25] offset0:34 offset1:51
	ds_write2_b64 v46, v[49:50], v[38:39] offset1:17
	ds_write2_b64 v43, v[51:52], v[47:48] offset1:17
	ds_write2_b64 v43, v[36:37], v[32:33] offset0:34 offset1:51
	s_and_saveexec_b32 s1, s0
	s_cbranch_execz .LBB0_24
; %bb.23:
	v_mul_f64 v[18:19], v[40:41], v[18:19]
	v_fma_f64 v[16:17], v[92:93], v[16:17], v[18:19]
	v_fma_f64 v[18:19], v[26:27], 2.0, -v[30:31]
	v_add_f64 v[16:17], v[88:89], -v[16:17]
	v_fma_f64 v[24:25], v[88:89], 2.0, -v[16:17]
	v_add_f64 v[26:27], v[16:17], v[28:29]
	v_mov_b32_e32 v28, 3
	v_mad_u32_u24 v29, 0x220, v42, 0
	v_lshlrev_b32_sdwa v28, v28, v44 dst_sel:DWORD dst_unused:UNUSED_PAD src0_sel:DWORD src1_sel:BYTE_0
	v_add3_u32 v28, v29, v28, v148
	v_add_f64 v[18:19], v[24:25], -v[18:19]
	v_fma_f64 v[16:17], v[16:17], 2.0, -v[26:27]
	v_fma_f64 v[24:25], v[24:25], 2.0, -v[18:19]
	ds_write2_b64 v28, v[24:25], v[16:17] offset1:17
	ds_write2_b64 v28, v[18:19], v[26:27] offset0:34 offset1:51
.LBB0_24:
	s_or_b32 exec_lo, exec_lo, s1
	s_waitcnt lgkmcnt(0)
	s_barrier
	buffer_gl0_inv
	s_and_saveexec_b32 s0, vcc_lo
	s_cbranch_execz .LBB0_26
; %bb.25:
	v_mul_u32_u24_e32 v16, 9, v100
	v_add_nc_u32_e32 v56, 0x400, v136
	v_add_nc_u32_e32 v60, 0x800, v136
	;; [unrolled: 1-line block ×3, first 2 shown]
	v_mul_lo_u32 v100, s3, v98
	v_lshlrev_b32_e32 v52, 4, v16
	v_mul_lo_u32 v99, s2, v99
	v_mad_u64_u32 v[84:85], null, s2, v98, 0
	v_mov_b32_e32 v102, 0
	s_clause 0x8
	global_load_dwordx4 v[16:19], v52, s[12:13] offset:848
	global_load_dwordx4 v[24:27], v52, s[12:13] offset:880
	global_load_dwordx4 v[28:31], v52, s[12:13] offset:944
	global_load_dwordx4 v[32:35], v52, s[12:13] offset:912
	global_load_dwordx4 v[36:39], v52, s[12:13] offset:832
	global_load_dwordx4 v[40:43], v52, s[12:13] offset:864
	global_load_dwordx4 v[44:47], v52, s[12:13] offset:928
	global_load_dwordx4 v[48:51], v52, s[12:13] offset:896
	global_load_dwordx4 v[52:55], v52, s[12:13] offset:816
	ds_read2_b64 v[56:59], v56 offset0:76 offset1:144
	ds_read2_b64 v[60:63], v60 offset0:84 offset1:152
	ds_read_b64 v[72:73], v136 offset:4896
	ds_read2_b64 v[64:67], v64 offset0:92 offset1:160
	ds_read_b64 v[74:75], v137
	ds_read2_b64 v[68:71], v136 offset0:68 offset1:136
	s_mov_b32 s0, 0x134454ff
	s_mov_b32 s1, 0x3fee6f0e
	v_add3_u32 v85, v85, v99, v100
	s_mov_b32 s7, 0xbfee6f0e
	s_mov_b32 s6, s0
	;; [unrolled: 1-line block ×10, first 2 shown]
	s_waitcnt vmcnt(8) lgkmcnt(5)
	v_mul_f64 v[76:77], v[56:57], v[18:19]
	s_waitcnt vmcnt(7) lgkmcnt(4)
	v_mul_f64 v[78:79], v[60:61], v[26:27]
	;; [unrolled: 2-line block ×3, first 2 shown]
	v_mul_f64 v[18:19], v[8:9], v[18:19]
	v_mul_f64 v[26:27], v[12:13], v[26:27]
	s_waitcnt vmcnt(5)
	v_mul_f64 v[82:83], v[4:5], v[34:35]
	v_mul_f64 v[30:31], v[22:23], v[30:31]
	s_waitcnt lgkmcnt(2)
	v_mul_f64 v[34:35], v[64:65], v[34:35]
	s_waitcnt vmcnt(4)
	v_mul_f64 v[86:87], v[2:3], v[38:39]
	s_waitcnt vmcnt(3)
	;; [unrolled: 2-line block ×3, first 2 shown]
	v_mul_f64 v[92:93], v[14:15], v[50:51]
	v_mul_f64 v[42:43], v[58:59], v[42:43]
	;; [unrolled: 1-line block ×3, first 2 shown]
	s_waitcnt lgkmcnt(0)
	v_mul_f64 v[38:39], v[70:71], v[38:39]
	s_waitcnt vmcnt(0)
	v_mul_f64 v[94:95], v[68:69], v[54:55]
	v_mul_f64 v[54:55], v[0:1], v[54:55]
	;; [unrolled: 1-line block ×3, first 2 shown]
	v_fma_f64 v[8:9], v[8:9], v[16:17], -v[76:77]
	v_fma_f64 v[12:13], v[12:13], v[24:25], -v[78:79]
	;; [unrolled: 1-line block ×3, first 2 shown]
	v_fma_f64 v[16:17], v[16:17], v[56:57], v[18:19]
	v_fma_f64 v[18:19], v[24:25], v[60:61], v[26:27]
	;; [unrolled: 1-line block ×4, first 2 shown]
	v_fma_f64 v[4:5], v[4:5], v[32:33], -v[34:35]
	v_mul_f64 v[28:29], v[66:67], v[46:47]
	v_fma_f64 v[30:31], v[70:71], v[36:37], v[86:87]
	v_fma_f64 v[32:33], v[58:59], v[40:41], v[88:89]
	;; [unrolled: 1-line block ×3, first 2 shown]
	v_fma_f64 v[10:11], v[10:11], v[40:41], -v[42:43]
	v_fma_f64 v[14:15], v[14:15], v[48:49], -v[50:51]
	;; [unrolled: 1-line block ×4, first 2 shown]
	v_fma_f64 v[36:37], v[52:53], v[68:69], v[54:55]
	v_fma_f64 v[34:35], v[66:67], v[44:45], v[90:91]
	v_lshlrev_b64 v[50:51], 4, v[101:102]
	v_add_f64 v[68:69], v[8:9], -v[12:13]
	v_add_f64 v[42:43], v[8:9], v[22:23]
	v_add_f64 v[64:65], v[8:9], -v[22:23]
	v_add_f64 v[72:73], v[16:17], -v[18:19]
	v_add_f64 v[38:39], v[18:19], v[24:25]
	v_add_f64 v[40:41], v[16:17], v[26:27]
	;; [unrolled: 1-line block ×3, first 2 shown]
	v_fma_f64 v[6:7], v[6:7], v[44:45], -v[28:29]
	v_add_f64 v[58:59], v[16:17], -v[26:27]
	v_add_f64 v[60:61], v[18:19], -v[24:25]
	;; [unrolled: 1-line block ×3, first 2 shown]
	v_lshlrev_b64 v[28:29], 4, v[84:85]
	v_add_f64 v[56:57], v[32:33], v[46:47]
	v_add_f64 v[70:71], v[22:23], -v[4:5]
	v_add_f64 v[76:77], v[26:27], -v[24:25]
	v_add_f64 v[84:85], v[12:13], -v[8:9]
	v_add_f64 v[82:83], v[30:31], v[34:35]
	v_add_f64 v[86:87], v[4:5], -v[22:23]
	v_add_f64 v[88:89], v[18:19], -v[16:17]
	;; [unrolled: 1-line block ×3, first 2 shown]
	v_add_f64 v[16:17], v[16:17], v[36:37]
	v_lshlrev_b64 v[44:45], 4, v[96:97]
	v_add_co_u32 v114, vcc_lo, s10, v28
	v_fma_f64 v[42:43], v[42:43], -0.5, v[0:1]
	v_add_f64 v[92:93], v[30:31], v[74:75]
	v_fma_f64 v[38:39], v[38:39], -0.5, v[36:37]
	v_fma_f64 v[40:41], v[40:41], -0.5, v[36:37]
	;; [unrolled: 1-line block ×3, first 2 shown]
	v_add_f64 v[36:37], v[10:11], v[14:15]
	v_add_f64 v[94:95], v[2:3], v[6:7]
	v_add_f64 v[66:67], v[2:3], -v[6:7]
	v_add_f64 v[96:97], v[2:3], -v[10:11]
	;; [unrolled: 1-line block ×3, first 2 shown]
	v_add_f64 v[2:3], v[20:21], v[2:3]
	v_add_f64 v[0:1], v[8:9], v[0:1]
	v_add_co_ci_u32_e32 v115, vcc_lo, s11, v29, vcc_lo
	v_add_f64 v[28:29], v[30:31], -v[32:33]
	v_add_f64 v[54:55], v[10:11], -v[14:15]
	;; [unrolled: 1-line block ×5, first 2 shown]
	v_fma_f64 v[8:9], v[56:57], -0.5, v[74:75]
	v_fma_f64 v[56:57], v[82:83], -0.5, v[74:75]
	v_add_f64 v[68:69], v[68:69], v[70:71]
	v_fma_f64 v[104:105], v[60:61], s[6:7], v[42:43]
	v_fma_f64 v[42:43], v[60:61], s[0:1], v[42:43]
	;; [unrolled: 1-line block ×8, first 2 shown]
	v_add_f64 v[70:71], v[72:73], v[76:77]
	v_fma_f64 v[36:37], v[36:37], -0.5, v[20:21]
	v_fma_f64 v[20:21], v[94:95], -0.5, v[20:21]
	v_add_f64 v[72:73], v[84:85], v[86:87]
	v_add_f64 v[74:75], v[88:89], v[90:91]
	;; [unrolled: 1-line block ×6, first 2 shown]
	v_add_f64 v[52:53], v[34:35], -v[46:47]
	v_add_f64 v[80:81], v[46:47], -v[34:35]
	v_add_f64 v[98:99], v[6:7], -v[14:15]
	v_add_f64 v[112:113], v[14:15], -v[6:7]
	v_fma_f64 v[10:11], v[66:67], s[0:1], v[8:9]
	v_fma_f64 v[84:85], v[58:59], s[2:3], v[104:105]
	;; [unrolled: 1-line block ×16, first 2 shown]
	v_add_f64 v[32:33], v[46:47], v[32:33]
	v_add_f64 v[16:17], v[24:25], v[16:17]
	;; [unrolled: 1-line block ×6, first 2 shown]
	v_fma_f64 v[4:5], v[54:55], s[2:3], v[10:11]
	v_fma_f64 v[64:65], v[72:73], s[4:5], v[84:85]
	;; [unrolled: 1-line block ×9, first 2 shown]
	v_add_f64 v[68:69], v[96:97], v[98:99]
	v_add_f64 v[70:71], v[110:111], v[112:113]
	v_fma_f64 v[10:11], v[66:67], s[2:3], v[12:13]
	v_fma_f64 v[12:13], v[66:67], s[8:9], v[18:19]
	v_fma_f64 v[8:9], v[54:55], s[8:9], v[8:9]
	v_fma_f64 v[18:19], v[30:31], s[8:9], v[58:59]
	v_fma_f64 v[20:21], v[30:31], s[2:3], v[20:21]
	v_fma_f64 v[24:25], v[108:109], s[2:3], v[36:37]
	v_fma_f64 v[14:15], v[108:109], s[8:9], v[56:57]
	v_add_f64 v[32:33], v[34:35], v[32:33]
	v_add_f64 v[16:17], v[26:27], v[16:17]
	;; [unrolled: 1-line block ×4, first 2 shown]
	v_add_co_u32 v78, vcc_lo, v114, v44
	v_mul_f64 v[46:47], v[64:65], s[6:7]
	v_mul_f64 v[30:31], v[60:61], s[12:13]
	;; [unrolled: 1-line block ×8, first 2 shown]
	v_fma_f64 v[34:35], v[28:29], s[4:5], v[4:5]
	v_add_co_ci_u32_e32 v79, vcc_lo, v115, v45, vcc_lo
	v_fma_f64 v[12:13], v[52:53], s[4:5], v[12:13]
	v_fma_f64 v[8:9], v[28:29], s[4:5], v[8:9]
	;; [unrolled: 1-line block ×6, first 2 shown]
	v_add_f64 v[6:7], v[32:33], v[16:17]
	v_add_f64 v[2:3], v[32:33], -v[16:17]
	v_add_f64 v[4:5], v[26:27], v[22:23]
	v_add_f64 v[0:1], v[26:27], -v[22:23]
	v_add_co_u32 v50, vcc_lo, v78, v50
	v_fma_f64 v[20:21], v[48:49], s[8:9], -v[30:31]
	v_fma_f64 v[28:29], v[42:43], s[6:7], -v[36:37]
	v_fma_f64 v[36:37], v[40:41], s[4:5], v[46:47]
	v_fma_f64 v[38:39], v[38:39], s[12:13], v[54:55]
	v_fma_f64 v[40:41], v[68:69], s[4:5], v[24:25]
	v_fma_f64 v[54:55], v[76:77], s[12:13], v[72:73]
	v_fma_f64 v[48:49], v[64:65], s[4:5], v[66:67]
	v_fma_f64 v[46:47], v[62:63], s[0:1], -v[58:59]
	v_fma_f64 v[42:43], v[60:61], s[2:3], -v[56:57]
	v_add_co_ci_u32_e32 v51, vcc_lo, v79, v51, vcc_lo
	v_add_co_u32 v56, vcc_lo, 0x800, v50
	v_add_co_ci_u32_e32 v57, vcc_lo, 0, v51, vcc_lo
	v_add_f64 v[10:11], v[34:35], -v[20:21]
	v_add_f64 v[26:27], v[34:35], v[20:21]
	v_add_f64 v[18:19], v[12:13], -v[36:37]
	v_add_f64 v[22:23], v[8:9], -v[38:39]
	v_add_f64 v[34:35], v[12:13], v[36:37]
	v_add_f64 v[38:39], v[8:9], v[38:39]
	;; [unrolled: 1-line block ×4, first 2 shown]
	v_add_f64 v[14:15], v[44:45], -v[28:29]
	v_add_f64 v[30:31], v[44:45], v[28:29]
	v_add_f64 v[28:29], v[74:75], v[46:47]
	;; [unrolled: 1-line block ×3, first 2 shown]
	v_add_f64 v[20:21], v[40:41], -v[54:55]
	v_add_f64 v[16:17], v[70:71], -v[48:49]
	;; [unrolled: 1-line block ×4, first 2 shown]
	v_add_co_u32 v40, vcc_lo, 0x1000, v50
	v_add_co_ci_u32_e32 v41, vcc_lo, 0, v51, vcc_lo
	v_add_co_u32 v42, vcc_lo, 0x1800, v50
	v_add_co_ci_u32_e32 v43, vcc_lo, 0, v51, vcc_lo
	;; [unrolled: 2-line block ×3, first 2 shown]
	global_store_dwordx4 v[50:51], v[4:7], off
	global_store_dwordx4 v[40:41], v[0:3], off offset:1344
	global_store_dwordx4 v[50:51], v[36:39], off offset:1088
	;; [unrolled: 1-line block ×9, first 2 shown]
.LBB0_26:
	s_endpgm
	.section	.rodata,"a",@progbits
	.p2align	6, 0x0
	.amdhsa_kernel fft_rtc_fwd_len680_factors_17_4_10_wgs_204_tpt_68_halfLds_dp_op_CI_CI_unitstride_sbrr_dirReg
		.amdhsa_group_segment_fixed_size 0
		.amdhsa_private_segment_fixed_size 0
		.amdhsa_kernarg_size 104
		.amdhsa_user_sgpr_count 6
		.amdhsa_user_sgpr_private_segment_buffer 1
		.amdhsa_user_sgpr_dispatch_ptr 0
		.amdhsa_user_sgpr_queue_ptr 0
		.amdhsa_user_sgpr_kernarg_segment_ptr 1
		.amdhsa_user_sgpr_dispatch_id 0
		.amdhsa_user_sgpr_flat_scratch_init 0
		.amdhsa_user_sgpr_private_segment_size 0
		.amdhsa_wavefront_size32 1
		.amdhsa_uses_dynamic_stack 0
		.amdhsa_system_sgpr_private_segment_wavefront_offset 0
		.amdhsa_system_sgpr_workgroup_id_x 1
		.amdhsa_system_sgpr_workgroup_id_y 0
		.amdhsa_system_sgpr_workgroup_id_z 0
		.amdhsa_system_sgpr_workgroup_info 0
		.amdhsa_system_vgpr_workitem_id 0
		.amdhsa_next_free_vgpr 247
		.amdhsa_next_free_sgpr 58
		.amdhsa_reserve_vcc 1
		.amdhsa_reserve_flat_scratch 0
		.amdhsa_float_round_mode_32 0
		.amdhsa_float_round_mode_16_64 0
		.amdhsa_float_denorm_mode_32 3
		.amdhsa_float_denorm_mode_16_64 3
		.amdhsa_dx10_clamp 1
		.amdhsa_ieee_mode 1
		.amdhsa_fp16_overflow 0
		.amdhsa_workgroup_processor_mode 1
		.amdhsa_memory_ordered 1
		.amdhsa_forward_progress 0
		.amdhsa_shared_vgpr_count 0
		.amdhsa_exception_fp_ieee_invalid_op 0
		.amdhsa_exception_fp_denorm_src 0
		.amdhsa_exception_fp_ieee_div_zero 0
		.amdhsa_exception_fp_ieee_overflow 0
		.amdhsa_exception_fp_ieee_underflow 0
		.amdhsa_exception_fp_ieee_inexact 0
		.amdhsa_exception_int_div_zero 0
	.end_amdhsa_kernel
	.text
.Lfunc_end0:
	.size	fft_rtc_fwd_len680_factors_17_4_10_wgs_204_tpt_68_halfLds_dp_op_CI_CI_unitstride_sbrr_dirReg, .Lfunc_end0-fft_rtc_fwd_len680_factors_17_4_10_wgs_204_tpt_68_halfLds_dp_op_CI_CI_unitstride_sbrr_dirReg
                                        ; -- End function
	.section	.AMDGPU.csdata,"",@progbits
; Kernel info:
; codeLenInByte = 12004
; NumSgprs: 60
; NumVgprs: 247
; ScratchSize: 0
; MemoryBound: 1
; FloatMode: 240
; IeeeMode: 1
; LDSByteSize: 0 bytes/workgroup (compile time only)
; SGPRBlocks: 7
; VGPRBlocks: 30
; NumSGPRsForWavesPerEU: 60
; NumVGPRsForWavesPerEU: 247
; Occupancy: 4
; WaveLimiterHint : 1
; COMPUTE_PGM_RSRC2:SCRATCH_EN: 0
; COMPUTE_PGM_RSRC2:USER_SGPR: 6
; COMPUTE_PGM_RSRC2:TRAP_HANDLER: 0
; COMPUTE_PGM_RSRC2:TGID_X_EN: 1
; COMPUTE_PGM_RSRC2:TGID_Y_EN: 0
; COMPUTE_PGM_RSRC2:TGID_Z_EN: 0
; COMPUTE_PGM_RSRC2:TIDIG_COMP_CNT: 0
	.text
	.p2alignl 6, 3214868480
	.fill 48, 4, 3214868480
	.type	__hip_cuid_eb519a820bae3d85,@object ; @__hip_cuid_eb519a820bae3d85
	.section	.bss,"aw",@nobits
	.globl	__hip_cuid_eb519a820bae3d85
__hip_cuid_eb519a820bae3d85:
	.byte	0                               ; 0x0
	.size	__hip_cuid_eb519a820bae3d85, 1

	.ident	"AMD clang version 19.0.0git (https://github.com/RadeonOpenCompute/llvm-project roc-6.4.0 25133 c7fe45cf4b819c5991fe208aaa96edf142730f1d)"
	.section	".note.GNU-stack","",@progbits
	.addrsig
	.addrsig_sym __hip_cuid_eb519a820bae3d85
	.amdgpu_metadata
---
amdhsa.kernels:
  - .args:
      - .actual_access:  read_only
        .address_space:  global
        .offset:         0
        .size:           8
        .value_kind:     global_buffer
      - .offset:         8
        .size:           8
        .value_kind:     by_value
      - .actual_access:  read_only
        .address_space:  global
        .offset:         16
        .size:           8
        .value_kind:     global_buffer
      - .actual_access:  read_only
        .address_space:  global
        .offset:         24
        .size:           8
        .value_kind:     global_buffer
      - .actual_access:  read_only
        .address_space:  global
        .offset:         32
        .size:           8
        .value_kind:     global_buffer
      - .offset:         40
        .size:           8
        .value_kind:     by_value
      - .actual_access:  read_only
        .address_space:  global
        .offset:         48
        .size:           8
        .value_kind:     global_buffer
      - .actual_access:  read_only
        .address_space:  global
        .offset:         56
        .size:           8
        .value_kind:     global_buffer
      - .offset:         64
        .size:           4
        .value_kind:     by_value
      - .actual_access:  read_only
        .address_space:  global
        .offset:         72
        .size:           8
        .value_kind:     global_buffer
      - .actual_access:  read_only
        .address_space:  global
        .offset:         80
        .size:           8
        .value_kind:     global_buffer
      - .actual_access:  read_only
        .address_space:  global
        .offset:         88
        .size:           8
        .value_kind:     global_buffer
      - .actual_access:  write_only
        .address_space:  global
        .offset:         96
        .size:           8
        .value_kind:     global_buffer
    .group_segment_fixed_size: 0
    .kernarg_segment_align: 8
    .kernarg_segment_size: 104
    .language:       OpenCL C
    .language_version:
      - 2
      - 0
    .max_flat_workgroup_size: 204
    .name:           fft_rtc_fwd_len680_factors_17_4_10_wgs_204_tpt_68_halfLds_dp_op_CI_CI_unitstride_sbrr_dirReg
    .private_segment_fixed_size: 0
    .sgpr_count:     60
    .sgpr_spill_count: 0
    .symbol:         fft_rtc_fwd_len680_factors_17_4_10_wgs_204_tpt_68_halfLds_dp_op_CI_CI_unitstride_sbrr_dirReg.kd
    .uniform_work_group_size: 1
    .uses_dynamic_stack: false
    .vgpr_count:     247
    .vgpr_spill_count: 0
    .wavefront_size: 32
    .workgroup_processor_mode: 1
amdhsa.target:   amdgcn-amd-amdhsa--gfx1030
amdhsa.version:
  - 1
  - 2
...

	.end_amdgpu_metadata
